;; amdgpu-corpus repo=ROCm/rocFFT kind=compiled arch=gfx1030 opt=O3
	.text
	.amdgcn_target "amdgcn-amd-amdhsa--gfx1030"
	.amdhsa_code_object_version 6
	.protected	fft_rtc_fwd_len1690_factors_13_10_13_wgs_169_tpt_169_sp_ip_CI_unitstride_sbrr_C2R_dirReg ; -- Begin function fft_rtc_fwd_len1690_factors_13_10_13_wgs_169_tpt_169_sp_ip_CI_unitstride_sbrr_C2R_dirReg
	.globl	fft_rtc_fwd_len1690_factors_13_10_13_wgs_169_tpt_169_sp_ip_CI_unitstride_sbrr_C2R_dirReg
	.p2align	8
	.type	fft_rtc_fwd_len1690_factors_13_10_13_wgs_169_tpt_169_sp_ip_CI_unitstride_sbrr_C2R_dirReg,@function
fft_rtc_fwd_len1690_factors_13_10_13_wgs_169_tpt_169_sp_ip_CI_unitstride_sbrr_C2R_dirReg: ; @fft_rtc_fwd_len1690_factors_13_10_13_wgs_169_tpt_169_sp_ip_CI_unitstride_sbrr_C2R_dirReg
; %bb.0:
	s_clause 0x2
	s_load_dwordx4 s[8:11], s[4:5], 0x0
	s_load_dwordx2 s[2:3], s[4:5], 0x50
	s_load_dwordx2 s[12:13], s[4:5], 0x18
	v_mul_u32_u24_e32 v1, 0x184, v0
	v_mov_b32_e32 v3, 0
	v_add_nc_u32_sdwa v5, s6, v1 dst_sel:DWORD dst_unused:UNUSED_PAD src0_sel:DWORD src1_sel:WORD_1
	v_mov_b32_e32 v1, 0
	v_mov_b32_e32 v6, v3
	v_mov_b32_e32 v2, 0
	s_waitcnt lgkmcnt(0)
	v_cmp_lt_u64_e64 s0, s[10:11], 2
	s_and_b32 vcc_lo, exec_lo, s0
	s_cbranch_vccnz .LBB0_8
; %bb.1:
	s_load_dwordx2 s[0:1], s[4:5], 0x10
	v_mov_b32_e32 v1, 0
	s_add_u32 s6, s12, 8
	v_mov_b32_e32 v2, 0
	s_addc_u32 s7, s13, 0
	s_mov_b64 s[16:17], 1
	s_waitcnt lgkmcnt(0)
	s_add_u32 s14, s0, 8
	s_addc_u32 s15, s1, 0
.LBB0_2:                                ; =>This Inner Loop Header: Depth=1
	s_load_dwordx2 s[18:19], s[14:15], 0x0
                                        ; implicit-def: $vgpr7_vgpr8
	s_mov_b32 s0, exec_lo
	s_waitcnt lgkmcnt(0)
	v_or_b32_e32 v4, s19, v6
	v_cmpx_ne_u64_e32 0, v[3:4]
	s_xor_b32 s1, exec_lo, s0
	s_cbranch_execz .LBB0_4
; %bb.3:                                ;   in Loop: Header=BB0_2 Depth=1
	v_cvt_f32_u32_e32 v4, s18
	v_cvt_f32_u32_e32 v7, s19
	s_sub_u32 s0, 0, s18
	s_subb_u32 s20, 0, s19
	v_fmac_f32_e32 v4, 0x4f800000, v7
	v_rcp_f32_e32 v4, v4
	v_mul_f32_e32 v4, 0x5f7ffffc, v4
	v_mul_f32_e32 v7, 0x2f800000, v4
	v_trunc_f32_e32 v7, v7
	v_fmac_f32_e32 v4, 0xcf800000, v7
	v_cvt_u32_f32_e32 v7, v7
	v_cvt_u32_f32_e32 v4, v4
	v_mul_lo_u32 v8, s0, v7
	v_mul_hi_u32 v9, s0, v4
	v_mul_lo_u32 v10, s20, v4
	v_add_nc_u32_e32 v8, v9, v8
	v_mul_lo_u32 v9, s0, v4
	v_add_nc_u32_e32 v8, v8, v10
	v_mul_hi_u32 v10, v4, v9
	v_mul_lo_u32 v11, v4, v8
	v_mul_hi_u32 v12, v4, v8
	v_mul_hi_u32 v13, v7, v9
	v_mul_lo_u32 v9, v7, v9
	v_mul_hi_u32 v14, v7, v8
	v_mul_lo_u32 v8, v7, v8
	v_add_co_u32 v10, vcc_lo, v10, v11
	v_add_co_ci_u32_e32 v11, vcc_lo, 0, v12, vcc_lo
	v_add_co_u32 v9, vcc_lo, v10, v9
	v_add_co_ci_u32_e32 v9, vcc_lo, v11, v13, vcc_lo
	v_add_co_ci_u32_e32 v10, vcc_lo, 0, v14, vcc_lo
	v_add_co_u32 v8, vcc_lo, v9, v8
	v_add_co_ci_u32_e32 v9, vcc_lo, 0, v10, vcc_lo
	v_add_co_u32 v4, vcc_lo, v4, v8
	v_add_co_ci_u32_e32 v7, vcc_lo, v7, v9, vcc_lo
	v_mul_hi_u32 v8, s0, v4
	v_mul_lo_u32 v10, s20, v4
	v_mul_lo_u32 v9, s0, v7
	v_add_nc_u32_e32 v8, v8, v9
	v_mul_lo_u32 v9, s0, v4
	v_add_nc_u32_e32 v8, v8, v10
	v_mul_hi_u32 v10, v4, v9
	v_mul_lo_u32 v11, v4, v8
	v_mul_hi_u32 v12, v4, v8
	v_mul_hi_u32 v13, v7, v9
	v_mul_lo_u32 v9, v7, v9
	v_mul_hi_u32 v14, v7, v8
	v_mul_lo_u32 v8, v7, v8
	v_add_co_u32 v10, vcc_lo, v10, v11
	v_add_co_ci_u32_e32 v11, vcc_lo, 0, v12, vcc_lo
	v_add_co_u32 v9, vcc_lo, v10, v9
	v_add_co_ci_u32_e32 v9, vcc_lo, v11, v13, vcc_lo
	v_add_co_ci_u32_e32 v10, vcc_lo, 0, v14, vcc_lo
	v_add_co_u32 v8, vcc_lo, v9, v8
	v_add_co_ci_u32_e32 v9, vcc_lo, 0, v10, vcc_lo
	v_add_co_u32 v4, vcc_lo, v4, v8
	v_add_co_ci_u32_e32 v11, vcc_lo, v7, v9, vcc_lo
	v_mul_hi_u32 v13, v5, v4
	v_mad_u64_u32 v[9:10], null, v6, v4, 0
	v_mad_u64_u32 v[7:8], null, v5, v11, 0
	;; [unrolled: 1-line block ×3, first 2 shown]
	v_add_co_u32 v4, vcc_lo, v13, v7
	v_add_co_ci_u32_e32 v7, vcc_lo, 0, v8, vcc_lo
	v_add_co_u32 v4, vcc_lo, v4, v9
	v_add_co_ci_u32_e32 v4, vcc_lo, v7, v10, vcc_lo
	v_add_co_ci_u32_e32 v7, vcc_lo, 0, v12, vcc_lo
	v_add_co_u32 v4, vcc_lo, v4, v11
	v_add_co_ci_u32_e32 v9, vcc_lo, 0, v7, vcc_lo
	v_mul_lo_u32 v10, s19, v4
	v_mad_u64_u32 v[7:8], null, s18, v4, 0
	v_mul_lo_u32 v11, s18, v9
	v_sub_co_u32 v7, vcc_lo, v5, v7
	v_add3_u32 v8, v8, v11, v10
	v_sub_nc_u32_e32 v10, v6, v8
	v_subrev_co_ci_u32_e64 v10, s0, s19, v10, vcc_lo
	v_add_co_u32 v11, s0, v4, 2
	v_add_co_ci_u32_e64 v12, s0, 0, v9, s0
	v_sub_co_u32 v13, s0, v7, s18
	v_sub_co_ci_u32_e32 v8, vcc_lo, v6, v8, vcc_lo
	v_subrev_co_ci_u32_e64 v10, s0, 0, v10, s0
	v_cmp_le_u32_e32 vcc_lo, s18, v13
	v_cmp_eq_u32_e64 s0, s19, v8
	v_cndmask_b32_e64 v13, 0, -1, vcc_lo
	v_cmp_le_u32_e32 vcc_lo, s19, v10
	v_cndmask_b32_e64 v14, 0, -1, vcc_lo
	v_cmp_le_u32_e32 vcc_lo, s18, v7
	;; [unrolled: 2-line block ×3, first 2 shown]
	v_cndmask_b32_e64 v15, 0, -1, vcc_lo
	v_cmp_eq_u32_e32 vcc_lo, s19, v10
	v_cndmask_b32_e64 v7, v15, v7, s0
	v_cndmask_b32_e32 v10, v14, v13, vcc_lo
	v_add_co_u32 v13, vcc_lo, v4, 1
	v_add_co_ci_u32_e32 v14, vcc_lo, 0, v9, vcc_lo
	v_cmp_ne_u32_e32 vcc_lo, 0, v10
	v_cndmask_b32_e32 v8, v14, v12, vcc_lo
	v_cndmask_b32_e32 v10, v13, v11, vcc_lo
	v_cmp_ne_u32_e32 vcc_lo, 0, v7
	v_cndmask_b32_e32 v8, v9, v8, vcc_lo
	v_cndmask_b32_e32 v7, v4, v10, vcc_lo
.LBB0_4:                                ;   in Loop: Header=BB0_2 Depth=1
	s_andn2_saveexec_b32 s0, s1
	s_cbranch_execz .LBB0_6
; %bb.5:                                ;   in Loop: Header=BB0_2 Depth=1
	v_cvt_f32_u32_e32 v4, s18
	s_sub_i32 s1, 0, s18
	v_rcp_iflag_f32_e32 v4, v4
	v_mul_f32_e32 v4, 0x4f7ffffe, v4
	v_cvt_u32_f32_e32 v4, v4
	v_mul_lo_u32 v7, s1, v4
	v_mul_hi_u32 v7, v4, v7
	v_add_nc_u32_e32 v4, v4, v7
	v_mul_hi_u32 v4, v5, v4
	v_mul_lo_u32 v7, v4, s18
	v_add_nc_u32_e32 v8, 1, v4
	v_sub_nc_u32_e32 v7, v5, v7
	v_subrev_nc_u32_e32 v9, s18, v7
	v_cmp_le_u32_e32 vcc_lo, s18, v7
	v_cndmask_b32_e32 v7, v7, v9, vcc_lo
	v_cndmask_b32_e32 v4, v4, v8, vcc_lo
	v_cmp_le_u32_e32 vcc_lo, s18, v7
	v_add_nc_u32_e32 v8, 1, v4
	v_cndmask_b32_e32 v7, v4, v8, vcc_lo
	v_mov_b32_e32 v8, v3
.LBB0_6:                                ;   in Loop: Header=BB0_2 Depth=1
	s_or_b32 exec_lo, exec_lo, s0
	s_load_dwordx2 s[0:1], s[6:7], 0x0
	v_mul_lo_u32 v4, v8, s18
	v_mul_lo_u32 v11, v7, s19
	v_mad_u64_u32 v[9:10], null, v7, s18, 0
	s_add_u32 s16, s16, 1
	s_addc_u32 s17, s17, 0
	s_add_u32 s6, s6, 8
	s_addc_u32 s7, s7, 0
	;; [unrolled: 2-line block ×3, first 2 shown]
	v_add3_u32 v4, v10, v11, v4
	v_sub_co_u32 v5, vcc_lo, v5, v9
	v_sub_co_ci_u32_e32 v4, vcc_lo, v6, v4, vcc_lo
	s_waitcnt lgkmcnt(0)
	v_mul_lo_u32 v6, s1, v5
	v_mul_lo_u32 v4, s0, v4
	v_mad_u64_u32 v[1:2], null, s0, v5, v[1:2]
	v_cmp_ge_u64_e64 s0, s[16:17], s[10:11]
	s_and_b32 vcc_lo, exec_lo, s0
	v_add3_u32 v2, v6, v2, v4
	s_cbranch_vccnz .LBB0_9
; %bb.7:                                ;   in Loop: Header=BB0_2 Depth=1
	v_mov_b32_e32 v5, v7
	v_mov_b32_e32 v6, v8
	s_branch .LBB0_2
.LBB0_8:
	v_mov_b32_e32 v8, v6
	v_mov_b32_e32 v7, v5
.LBB0_9:
	s_lshl_b64 s[0:1], s[10:11], 3
	v_mul_hi_u32 v5, 0x183c978, v0
	s_add_u32 s0, s12, s0
	s_addc_u32 s1, s13, s1
	s_load_dwordx2 s[0:1], s[0:1], 0x0
	s_load_dwordx2 s[4:5], s[4:5], 0x20
	s_waitcnt lgkmcnt(0)
	v_mul_lo_u32 v3, s0, v8
	v_mul_lo_u32 v4, s1, v7
	v_mad_u64_u32 v[1:2], null, s0, v7, v[1:2]
	v_cmp_gt_u64_e32 vcc_lo, s[4:5], v[7:8]
	v_add3_u32 v2, v4, v2, v3
	v_mul_u32_u24_e32 v3, 0xa9, v5
	v_lshlrev_b64 v[30:31], 3, v[1:2]
	v_sub_nc_u32_e32 v28, v0, v3
	s_and_saveexec_b32 s1, vcc_lo
	s_cbranch_execz .LBB0_13
; %bb.10:
	v_mov_b32_e32 v29, 0
	v_add_co_u32 v0, s0, s2, v30
	v_add_co_ci_u32_e64 v1, s0, s3, v31, s0
	v_lshlrev_b64 v[2:3], 3, v[28:29]
	v_lshl_add_u32 v22, v28, 3, 0
	s_mov_b32 s4, exec_lo
	v_add_nc_u32_e32 v23, 0x800, v22
	v_add_co_u32 v2, s0, v0, v2
	v_add_co_ci_u32_e64 v3, s0, v1, v3, s0
	v_add_nc_u32_e32 v24, 0x1400, v22
	v_add_co_u32 v4, s0, 0x800, v2
	v_add_co_ci_u32_e64 v5, s0, 0, v3, s0
	v_add_co_u32 v6, s0, 0x1000, v2
	v_add_co_ci_u32_e64 v7, s0, 0, v3, s0
	;; [unrolled: 2-line block ×4, first 2 shown]
	s_clause 0x3
	global_load_dwordx2 v[8:9], v[2:3], off
	global_load_dwordx2 v[10:11], v[2:3], off offset:1352
	global_load_dwordx2 v[12:13], v[4:5], off offset:656
	;; [unrolled: 1-line block ×3, first 2 shown]
	v_add_co_u32 v2, s0, 0x2800, v2
	v_add_co_ci_u32_e64 v3, s0, 0, v3, s0
	s_clause 0x5
	global_load_dwordx2 v[6:7], v[6:7], off offset:1312
	global_load_dwordx2 v[18:19], v[14:15], off offset:616
	;; [unrolled: 1-line block ×6, first 2 shown]
	v_add_nc_u32_e32 v25, 0x1e00, v22
	v_add_nc_u32_e32 v26, 0x2800, v22
	s_waitcnt vmcnt(8)
	ds_write2_b64 v22, v[8:9], v[10:11] offset1:169
	s_waitcnt vmcnt(6)
	ds_write2_b64 v23, v[12:13], v[4:5] offset0:82 offset1:251
	s_waitcnt vmcnt(4)
	ds_write2_b64 v24, v[6:7], v[18:19] offset0:36 offset1:205
	;; [unrolled: 2-line block ×4, first 2 shown]
	v_cmpx_eq_u32_e32 0xa8, v28
	s_cbranch_execz .LBB0_12
; %bb.11:
	v_add_co_u32 v0, s0, 0x3000, v0
	v_add_co_ci_u32_e64 v1, s0, 0, v1, s0
	v_mov_b32_e32 v28, 0xa8
	global_load_dwordx2 v[0:1], v[0:1], off offset:1232
	s_waitcnt vmcnt(0)
	ds_write_b64 v29, v[0:1] offset:13520
.LBB0_12:
	s_or_b32 exec_lo, exec_lo, s4
.LBB0_13:
	s_or_b32 exec_lo, exec_lo, s1
	v_lshlrev_b32_e32 v0, 3, v28
	s_waitcnt lgkmcnt(0)
	s_barrier
	buffer_gl0_inv
	s_add_u32 s1, s8, 0x3468
	v_add_nc_u32_e32 v36, 0, v0
	v_sub_nc_u32_e32 v4, 0, v0
	s_addc_u32 s4, s9, 0
	s_mov_b32 s5, exec_lo
                                        ; implicit-def: $vgpr2_vgpr3
	ds_read_b32 v5, v36
	ds_read_b32 v6, v4 offset:13520
	s_waitcnt lgkmcnt(0)
	v_add_f32_e32 v0, v6, v5
	v_sub_f32_e32 v1, v5, v6
	v_cmpx_ne_u32_e32 0, v28
	s_xor_b32 s5, exec_lo, s5
	s_cbranch_execz .LBB0_15
; %bb.14:
	v_mov_b32_e32 v29, 0
	v_add_f32_e32 v7, v6, v5
	v_sub_f32_e32 v8, v5, v6
	v_lshlrev_b64 v[0:1], 3, v[28:29]
	v_add_co_u32 v0, s0, s1, v0
	v_add_co_ci_u32_e64 v1, s0, s4, v1, s0
	global_load_dwordx2 v[2:3], v[0:1], off
	ds_read_b32 v0, v4 offset:13524
	ds_read_b32 v1, v36 offset:4
	s_waitcnt lgkmcnt(0)
	v_add_f32_e32 v9, v0, v1
	v_sub_f32_e32 v0, v1, v0
	s_waitcnt vmcnt(0)
	v_fma_f32 v5, -v8, v3, v7
	v_fma_f32 v6, v9, v3, -v0
	v_fma_f32 v10, v8, v3, v7
	v_fma_f32 v1, v9, v3, v0
	v_fmac_f32_e32 v5, v2, v9
	v_fmac_f32_e32 v6, v8, v2
	v_fma_f32 v0, -v2, v9, v10
	v_fmac_f32_e32 v1, v8, v2
	v_mov_b32_e32 v2, v28
	v_mov_b32_e32 v3, v29
	ds_write_b64 v4, v[5:6] offset:13520
.LBB0_15:
	s_andn2_saveexec_b32 s0, s5
	s_cbranch_execz .LBB0_17
; %bb.16:
	v_mov_b32_e32 v7, 0
	ds_read_b64 v[2:3], v7 offset:6760
	s_waitcnt lgkmcnt(0)
	v_add_f32_e32 v5, v2, v2
	v_mul_f32_e32 v6, -2.0, v3
	v_mov_b32_e32 v2, 0
	v_mov_b32_e32 v3, 0
	ds_write_b64 v7, v[5:6] offset:6760
.LBB0_17:
	s_or_b32 exec_lo, exec_lo, s0
	v_lshlrev_b64 v[2:3], 3, v[2:3]
	v_add_nc_u32_e32 v37, 0x800, v36
	v_add_nc_u32_e32 v29, 0x2800, v36
	v_add_co_u32 v2, s0, s1, v2
	v_add_co_ci_u32_e64 v3, s0, s4, v3, s0
	v_add_co_u32 v7, s0, 0x800, v2
	global_load_dwordx2 v[5:6], v[2:3], off offset:1352
	v_add_co_ci_u32_e64 v8, s0, 0, v3, s0
	v_add_co_u32 v2, s0, 0x1000, v2
	s_clause 0x1
	global_load_dwordx2 v[9:10], v[7:8], off offset:656
	global_load_dwordx2 v[7:8], v[7:8], off offset:2008
	v_add_co_ci_u32_e64 v3, s0, 0, v3, s0
	ds_write_b64 v36, v[0:1]
	v_cmp_gt_u32_e64 s0, 0x82, v28
	global_load_dwordx2 v[2:3], v[2:3], off offset:1312
	ds_read_b64 v[0:1], v36 offset:1352
	ds_read_b64 v[11:12], v4 offset:12168
	s_waitcnt lgkmcnt(0)
	v_add_f32_e32 v13, v0, v11
	v_add_f32_e32 v14, v12, v1
	v_sub_f32_e32 v15, v0, v11
	v_sub_f32_e32 v0, v1, v12
	s_waitcnt vmcnt(3)
	v_fma_f32 v16, v15, v6, v13
	v_fma_f32 v1, v14, v6, v0
	v_fma_f32 v11, -v15, v6, v13
	v_fma_f32 v12, v14, v6, -v0
	v_fma_f32 v0, -v5, v14, v16
	v_fmac_f32_e32 v1, v15, v5
	v_fmac_f32_e32 v11, v5, v14
	v_fmac_f32_e32 v12, v15, v5
	ds_write_b64 v36, v[0:1] offset:1352
	ds_write_b64 v4, v[11:12] offset:12168
	ds_read_b64 v[0:1], v36 offset:2704
	ds_read_b64 v[5:6], v4 offset:10816
	s_waitcnt lgkmcnt(0)
	v_add_f32_e32 v11, v0, v5
	v_add_f32_e32 v12, v6, v1
	v_sub_f32_e32 v13, v0, v5
	v_sub_f32_e32 v0, v1, v6
	s_waitcnt vmcnt(2)
	v_fma_f32 v14, v13, v10, v11
	v_fma_f32 v1, v12, v10, v0
	v_fma_f32 v5, -v13, v10, v11
	v_fma_f32 v6, v12, v10, -v0
	v_fma_f32 v0, -v9, v12, v14
	v_fmac_f32_e32 v1, v13, v9
	v_fmac_f32_e32 v5, v9, v12
	v_fmac_f32_e32 v6, v13, v9
	ds_write_b64 v36, v[0:1] offset:2704
	ds_write_b64 v4, v[5:6] offset:10816
	;; [unrolled: 18-line block ×4, first 2 shown]
	s_waitcnt lgkmcnt(0)
	s_barrier
	buffer_gl0_inv
	s_barrier
	buffer_gl0_inv
	ds_read2_b64 v[4:7], v36 offset1:130
	ds_read_b64 v[34:35], v36 offset:12480
	ds_read2_b64 v[24:27], v37 offset0:4 offset1:134
	ds_read2_b64 v[8:11], v29 offset0:20 offset1:150
	v_add_nc_u32_e32 v0, 0x1000, v36
	v_add_nc_u32_e32 v1, 0x2000, v36
	ds_read2_b64 v[20:23], v0 offset0:8 offset1:138
	ds_read2_b64 v[12:15], v1 offset0:16 offset1:146
	v_add_nc_u32_e32 v0, 0x1800, v36
	ds_read2_b64 v[16:19], v0 offset0:12 offset1:142
	s_waitcnt lgkmcnt(0)
	s_barrier
	buffer_gl0_inv
	v_sub_f32_e32 v88, v6, v34
	v_sub_f32_e32 v85, v7, v35
	v_add_f32_e32 v45, v34, v6
	v_add_f32_e32 v49, v35, v7
	v_sub_f32_e32 v86, v24, v10
	v_sub_f32_e32 v82, v25, v11
	v_mul_f32_e32 v59, 0xbeedf032, v85
	v_mul_f32_e32 v61, 0xbeedf032, v88
	;; [unrolled: 1-line block ×6, first 2 shown]
	v_add_f32_e32 v43, v10, v24
	v_add_f32_e32 v46, v11, v25
	v_sub_f32_e32 v83, v26, v8
	v_sub_f32_e32 v80, v27, v9
	v_mul_f32_e32 v58, 0xbf52af12, v82
	v_mul_f32_e32 v60, 0xbf52af12, v86
	;; [unrolled: 1-line block ×6, first 2 shown]
	v_fmamk_f32 v0, v45, 0x3f62ad3f, v59
	v_fma_f32 v1, 0x3f62ad3f, v49, -v61
	v_fmamk_f32 v104, v45, 0x3f116cb1, v67
	v_fma_f32 v106, 0x3f116cb1, v49, -v72
	;; [unrolled: 2-line block ×3, first 2 shown]
	v_add_f32_e32 v40, v8, v26
	v_add_f32_e32 v44, v9, v27
	v_sub_f32_e32 v81, v20, v14
	v_sub_f32_e32 v78, v21, v15
	v_mul_f32_e32 v56, 0xbf7e222b, v80
	v_mul_f32_e32 v57, 0xbf7e222b, v83
	;; [unrolled: 1-line block ×6, first 2 shown]
	v_fmamk_f32 v2, v43, 0x3f116cb1, v58
	v_fma_f32 v3, 0x3f116cb1, v46, -v60
	v_fmamk_f32 v105, v43, 0xbeb58ec6, v66
	v_fma_f32 v107, 0xbeb58ec6, v46, -v73
	v_fmamk_f32 v117, v43, 0xbf788fa5, v91
	v_add_f32_e32 v0, v4, v0
	v_fma_f32 v123, 0xbf788fa5, v46, -v96
	v_add_f32_e32 v1, v5, v1
	v_add_f32_e32 v104, v4, v104
	;; [unrolled: 1-line block ×7, first 2 shown]
	v_sub_f32_e32 v76, v23, v13
	v_sub_f32_e32 v79, v22, v12
	v_mul_f32_e32 v54, 0xbf6f5d39, v78
	v_mul_f32_e32 v55, 0xbf6f5d39, v81
	;; [unrolled: 1-line block ×6, first 2 shown]
	v_fmamk_f32 v32, v40, 0x3df6dbef, v56
	v_fma_f32 v33, 0x3df6dbef, v44, -v57
	v_fmamk_f32 v108, v40, 0xbf788fa5, v68
	v_fma_f32 v109, 0xbf788fa5, v44, -v71
	;; [unrolled: 2-line block ×3, first 2 shown]
	v_add_f32_e32 v0, v2, v0
	v_add_f32_e32 v1, v3, v1
	;; [unrolled: 1-line block ×8, first 2 shown]
	v_sub_f32_e32 v75, v17, v19
	v_sub_f32_e32 v77, v16, v18
	v_mul_f32_e32 v51, 0xbf29c268, v76
	v_mul_f32_e32 v53, 0xbf29c268, v79
	;; [unrolled: 1-line block ×6, first 2 shown]
	v_fmamk_f32 v98, v39, 0xbeb58ec6, v54
	v_fma_f32 v99, 0xbeb58ec6, v42, -v55
	v_fmamk_f32 v110, v39, 0xbf3f9e67, v65
	v_fma_f32 v111, 0xbf3f9e67, v42, -v70
	;; [unrolled: 2-line block ×3, first 2 shown]
	v_add_f32_e32 v0, v32, v0
	v_add_f32_e32 v1, v33, v1
	v_add_f32_e32 v32, v108, v104
	v_add_f32_e32 v33, v109, v106
	v_add_f32_e32 v104, v118, v107
	v_add_f32_e32 v106, v124, v116
	v_add_f32_e32 v47, v18, v16
	v_add_f32_e32 v48, v19, v17
	v_mul_f32_e32 v50, 0xbe750f2a, v75
	v_mul_f32_e32 v52, 0xbe750f2a, v77
	;; [unrolled: 1-line block ×6, first 2 shown]
	v_fmamk_f32 v100, v38, 0xbf3f9e67, v51
	v_fma_f32 v101, 0xbf3f9e67, v41, -v53
	v_fmamk_f32 v112, v38, 0x3df6dbef, v63
	v_fma_f32 v113, 0x3df6dbef, v41, -v69
	;; [unrolled: 2-line block ×3, first 2 shown]
	v_add_f32_e32 v0, v98, v0
	v_add_f32_e32 v1, v99, v1
	;; [unrolled: 1-line block ×6, first 2 shown]
	v_fmamk_f32 v102, v47, 0xbf788fa5, v50
	v_fma_f32 v103, 0xbf788fa5, v48, -v52
	v_fmamk_f32 v114, v47, 0x3f62ad3f, v62
	v_fma_f32 v115, 0x3f62ad3f, v48, -v64
	;; [unrolled: 2-line block ×3, first 2 shown]
	v_add_f32_e32 v0, v100, v0
	v_add_f32_e32 v1, v101, v1
	;; [unrolled: 1-line block ×12, first 2 shown]
	s_and_saveexec_b32 s1, s0
	s_cbranch_execz .LBB0_19
; %bb.18:
	v_add_f32_e32 v7, v5, v7
	v_add_f32_e32 v6, v4, v6
	v_mul_f32_e32 v99, 0xbe750f2a, v88
	v_mul_f32_e32 v98, 0x3eedf032, v86
	;; [unrolled: 1-line block ×3, first 2 shown]
	v_add_f32_e32 v25, v7, v25
	v_add_f32_e32 v100, v6, v24
	v_mul_f32_e32 v24, 0xbe750f2a, v85
	v_mul_f32_e32 v7, 0x3eedf032, v82
	;; [unrolled: 1-line block ×3, first 2 shown]
	v_add_f32_e32 v25, v25, v27
	v_add_f32_e32 v26, v100, v26
	v_fmamk_f32 v27, v49, 0xbf788fa5, v99
	v_fma_f32 v101, 0xbf788fa5, v45, -v24
	v_fmamk_f32 v100, v46, 0x3f62ad3f, v98
	v_add_f32_e32 v21, v25, v21
	v_add_f32_e32 v20, v26, v20
	;; [unrolled: 1-line block ×3, first 2 shown]
	v_fma_f32 v26, 0x3f62ad3f, v43, -v7
	v_add_f32_e32 v27, v4, v101
	v_mul_f32_e32 v101, 0xbf29c268, v80
	v_mul_f32_e32 v109, 0xbf29c268, v85
	v_fmamk_f32 v102, v44, 0xbf3f9e67, v6
	v_add_f32_e32 v25, v100, v25
	v_add_f32_e32 v26, v26, v27
	v_fma_f32 v27, 0xbf3f9e67, v40, -v101
	v_mul_f32_e32 v100, 0x3f52af12, v81
	v_add_f32_e32 v106, v21, v23
	v_mul_f32_e32 v111, 0x3f7e222b, v82
	v_add_f32_e32 v25, v102, v25
	v_add_f32_e32 v26, v27, v26
	v_fma_f32 v27, 0x3f116cb1, v39, -v103
	v_fmamk_f32 v102, v42, 0x3f116cb1, v100
	v_mul_f32_e32 v104, 0xbf6f5d39, v79
	v_mul_f32_e32 v105, 0xbf6f5d39, v76
	v_fma_f32 v114, 0x3df6dbef, v43, -v111
	v_add_f32_e32 v21, v27, v26
	v_fma_f32 v26, 0xbf3f9e67, v45, -v109
	v_mul_f32_e32 v115, 0xbf52af12, v80
	v_add_f32_e32 v25, v102, v25
	v_fmamk_f32 v102, v41, 0xbeb58ec6, v104
	v_fma_f32 v23, 0xbeb58ec6, v38, -v105
	v_add_f32_e32 v26, v4, v26
	v_mul_f32_e32 v107, 0xbf29c268, v88
	v_mul_f32_e32 v117, 0x3e750f2a, v78
	v_add_f32_e32 v27, v20, v22
	v_add_f32_e32 v20, v102, v25
	;; [unrolled: 1-line block ×3, first 2 shown]
	v_fma_f32 v114, 0x3f116cb1, v40, -v115
	v_mul_f32_e32 v102, 0x3f7e222b, v77
	v_add_f32_e32 v22, v23, v21
	v_mul_f32_e32 v108, 0x3f7e222b, v75
	v_fmamk_f32 v23, v49, 0xbf3f9e67, v107
	v_mul_f32_e32 v110, 0x3f7e222b, v86
	v_add_f32_e32 v26, v114, v26
	v_fma_f32 v114, 0xbf788fa5, v39, -v117
	v_mul_f32_e32 v119, 0x3eedf032, v76
	v_fmamk_f32 v21, v48, 0x3df6dbef, v102
	v_fma_f32 v25, 0x3df6dbef, v47, -v108
	v_add_f32_e32 v23, v5, v23
	v_fmamk_f32 v112, v46, 0x3df6dbef, v110
	v_mul_f32_e32 v113, 0xbf52af12, v83
	v_add_f32_e32 v26, v114, v26
	v_fma_f32 v114, 0x3f62ad3f, v38, -v119
	v_mul_f32_e32 v88, 0xbf6f5d39, v88
	v_mul_f32_e32 v85, 0xbf6f5d39, v85
	v_add_f32_e32 v23, v112, v23
	v_fmamk_f32 v112, v44, 0x3f116cb1, v113
	v_mul_f32_e32 v116, 0x3e750f2a, v81
	v_add_f32_e32 v21, v21, v20
	v_add_f32_e32 v20, v25, v22
	v_add_f32_e32 v25, v114, v26
	v_fmamk_f32 v26, v49, 0xbeb58ec6, v88
	v_mul_f32_e32 v86, 0x3f29c268, v86
	v_fma_f32 v121, 0xbeb58ec6, v45, -v85
	v_mul_f32_e32 v82, 0x3f29c268, v82
	v_add_f32_e32 v23, v112, v23
	v_fmamk_f32 v112, v42, 0xbf788fa5, v116
	v_mul_f32_e32 v118, 0x3eedf032, v79
	v_add_f32_e32 v26, v5, v26
	v_fmamk_f32 v122, v46, 0xbf3f9e67, v86
	v_mul_f32_e32 v83, 0x3eedf032, v83
	v_add_f32_e32 v121, v4, v121
	v_fma_f32 v123, 0xbf3f9e67, v43, -v82
	v_mul_f32_e32 v80, 0x3eedf032, v80
	v_add_f32_e32 v23, v112, v23
	v_fmamk_f32 v112, v41, 0x3f62ad3f, v118
	v_add_f32_e32 v26, v122, v26
	v_fmamk_f32 v122, v44, 0x3f62ad3f, v83
	v_mul_f32_e32 v81, 0xbf7e222b, v81
	v_add_f32_e32 v121, v123, v121
	v_fma_f32 v123, 0x3f62ad3f, v40, -v80
	v_mul_f32_e32 v78, 0xbf7e222b, v78
	v_add_f32_e32 v22, v112, v23
	v_mul_f32_e32 v112, 0xbf6f5d39, v77
	v_mul_f32_e32 v114, 0xbf6f5d39, v75
	v_add_f32_e32 v26, v122, v26
	v_fmamk_f32 v122, v42, 0x3df6dbef, v81
	v_mul_f32_e32 v79, 0x3e750f2a, v79
	v_add_f32_e32 v121, v123, v121
	v_fma_f32 v123, 0x3df6dbef, v39, -v78
	v_mul_f32_e32 v76, 0x3e750f2a, v76
	v_mul_f32_e32 v124, 0x3df6dbef, v49
	v_fmamk_f32 v23, v48, 0xbeb58ec6, v112
	v_fma_f32 v120, 0xbeb58ec6, v47, -v114
	v_add_f32_e32 v26, v122, v26
	v_fmamk_f32 v122, v41, 0xbf788fa5, v79
	v_add_f32_e32 v121, v123, v121
	v_fma_f32 v123, 0xbf788fa5, v38, -v76
	v_add_f32_e32 v97, v97, v124
	v_mul_f32_e32 v124, 0xbf788fa5, v46
	v_add_f32_e32 v23, v23, v22
	v_add_f32_e32 v22, v120, v25
	;; [unrolled: 1-line block ×6, first 2 shown]
	v_mul_f32_e32 v97, 0xbeb58ec6, v44
	v_mul_f32_e32 v121, 0x3df6dbef, v45
	v_add_f32_e32 v17, v106, v17
	v_add_f32_e32 v16, v27, v16
	;; [unrolled: 1-line block ×4, first 2 shown]
	v_mul_f32_e32 v96, 0x3f62ad3f, v42
	v_mul_f32_e32 v97, 0xbf788fa5, v43
	v_sub_f32_e32 v92, v121, v92
	v_add_f32_e32 v17, v17, v19
	v_add_f32_e32 v26, v95, v26
	;; [unrolled: 1-line block ×3, first 2 shown]
	v_sub_f32_e32 v91, v97, v91
	v_add_f32_e32 v92, v4, v92
	v_mul_f32_e32 v95, 0xbeb58ec6, v40
	v_mul_f32_e32 v97, 0x3f116cb1, v41
	v_add_f32_e32 v94, v94, v26
	v_add_f32_e32 v13, v17, v13
	;; [unrolled: 1-line block ×3, first 2 shown]
	v_sub_f32_e32 v89, v95, v89
	v_mul_f32_e32 v92, 0x3f62ad3f, v39
	v_add_f32_e32 v93, v93, v97
	v_mul_f32_e32 v95, 0xbeb58ec6, v46
	v_add_f32_e32 v13, v13, v15
	v_add_f32_e32 v89, v89, v91
	v_sub_f32_e32 v87, v92, v87
	v_add_f32_e32 v91, v93, v94
	v_mul_f32_e32 v92, 0x3f116cb1, v49
	v_mul_f32_e32 v93, 0x3f116cb1, v38
	;; [unrolled: 1-line block ×3, first 2 shown]
	v_add_f32_e32 v87, v87, v89
	v_add_f32_e32 v73, v73, v95
	;; [unrolled: 1-line block ×3, first 2 shown]
	v_sub_f32_e32 v84, v93, v84
	v_add_f32_e32 v89, v90, v94
	v_mul_f32_e32 v90, 0x3f116cb1, v45
	v_mul_f32_e32 v92, 0xbf788fa5, v44
	v_add_f32_e32 v72, v5, v72
	v_add_f32_e32 v84, v84, v87
	v_mul_f32_e32 v87, 0xbeb58ec6, v43
	v_sub_f32_e32 v67, v90, v67
	v_add_f32_e32 v71, v71, v92
	v_add_f32_e32 v72, v73, v72
	v_mul_f32_e32 v73, 0xbf3f9e67, v42
	v_sub_f32_e32 v66, v87, v66
	v_add_f32_e32 v67, v4, v67
	v_mul_f32_e32 v87, 0xbf788fa5, v40
	v_add_f32_e32 v71, v71, v72
	v_add_f32_e32 v70, v70, v73
	v_mul_f32_e32 v73, 0x3df6dbef, v41
	v_add_f32_e32 v66, v66, v67
	v_sub_f32_e32 v67, v87, v68
	v_mul_f32_e32 v68, 0xbf3f9e67, v39
	v_add_f32_e32 v70, v70, v71
	v_add_f32_e32 v69, v69, v73
	v_mul_f32_e32 v71, 0x3f62ad3f, v48
	v_add_f32_e32 v66, v67, v66
	v_sub_f32_e32 v67, v68, v65
	v_mul_f32_e32 v68, 0x3df6dbef, v38
	v_add_f32_e32 v15, v16, v18
	v_add_f32_e32 v9, v13, v9
	v_fmac_f32_e32 v24, 0xbf788fa5, v45
	v_add_f32_e32 v66, v67, v66
	v_sub_f32_e32 v63, v68, v63
	v_add_f32_e32 v67, v69, v70
	v_mul_f32_e32 v68, 0x3f62ad3f, v47
	v_add_f32_e32 v69, v64, v71
	v_mul_f32_e32 v70, 0x3f62ad3f, v49
	v_add_f32_e32 v63, v63, v66
	v_add_f32_e32 v13, v15, v12
	v_sub_f32_e32 v66, v68, v62
	v_add_f32_e32 v62, v69, v67
	v_mul_f32_e32 v67, 0x3f62ad3f, v45
	v_add_f32_e32 v68, v61, v70
	v_mul_f32_e32 v69, 0x3f116cb1, v46
	;; [unrolled: 2-line block ×3, first 2 shown]
	v_sub_f32_e32 v59, v67, v59
	v_add_f32_e32 v66, v5, v68
	v_add_f32_e32 v60, v60, v69
	v_mul_f32_e32 v67, 0x3df6dbef, v44
	v_sub_f32_e32 v58, v63, v58
	v_mul_f32_e32 v63, 0x3df6dbef, v40
	v_add_f32_e32 v59, v4, v59
	v_add_f32_e32 v60, v60, v66
	v_mul_f32_e32 v66, 0xbeb58ec6, v39
	v_add_f32_e32 v57, v57, v67
	v_sub_f32_e32 v56, v63, v56
	v_add_f32_e32 v58, v58, v59
	v_mul_f32_e32 v59, 0xbf3f9e67, v38
	v_sub_f32_e32 v54, v66, v54
	v_add_f32_e32 v57, v57, v60
	v_mul_f32_e32 v60, 0xbf788fa5, v47
	v_add_f32_e32 v56, v56, v58
	v_sub_f32_e32 v16, v59, v51
	v_add_f32_e32 v13, v13, v14
	v_fma_f32 v14, 0xbf788fa5, v49, -v99
	v_add_f32_e32 v9, v9, v11
	v_add_f32_e32 v27, v54, v56
	v_fmac_f32_e32 v7, 0x3f62ad3f, v43
	v_add_f32_e32 v8, v13, v8
	v_add_f32_e32 v13, v5, v14
	v_fma_f32 v14, 0x3f62ad3f, v46, -v98
	v_add_f32_e32 v15, v16, v27
	v_sub_f32_e32 v16, v60, v50
	v_fma_f32 v6, 0xbf3f9e67, v44, -v6
	v_fmac_f32_e32 v101, 0xbf3f9e67, v40
	v_add_f32_e32 v13, v14, v13
	v_fmac_f32_e32 v103, 0x3f116cb1, v39
	v_add_f32_e32 v11, v16, v15
	v_add_f32_e32 v15, v4, v24
	v_fmac_f32_e32 v105, 0xbeb58ec6, v38
	v_add_f32_e32 v6, v6, v13
	v_fma_f32 v13, 0x3f116cb1, v42, -v100
	v_add_f32_e32 v8, v8, v10
	v_add_f32_e32 v7, v7, v15
	v_fma_f32 v10, 0xbf3f9e67, v49, -v107
	v_fmac_f32_e32 v108, 0x3df6dbef, v47
	v_add_f32_e32 v6, v13, v6
	v_fma_f32 v13, 0xbeb58ec6, v41, -v104
	v_add_f32_e32 v7, v101, v7
	v_fmac_f32_e32 v109, 0xbf3f9e67, v45
	v_fmac_f32_e32 v85, 0xbeb58ec6, v45
	v_mul_f32_e32 v67, 0xbeb58ec6, v42
	v_add_f32_e32 v6, v13, v6
	v_add_f32_e32 v7, v103, v7
	v_fma_f32 v13, 0x3df6dbef, v48, -v102
	v_add_f32_e32 v10, v5, v10
	v_fma_f32 v14, 0x3df6dbef, v46, -v110
	v_fmac_f32_e32 v111, 0x3df6dbef, v43
	v_add_f32_e32 v15, v105, v7
	v_add_f32_e32 v7, v13, v6
	v_fma_f32 v13, 0xbeb58ec6, v49, -v88
	v_fmac_f32_e32 v82, 0xbf3f9e67, v43
	v_mul_f32_e32 v63, 0xbf3f9e67, v41
	v_add_f32_e32 v6, v108, v15
	v_add_f32_e32 v15, v4, v109
	;; [unrolled: 1-line block ×3, first 2 shown]
	v_fma_f32 v13, 0xbf3f9e67, v46, -v86
	v_add_f32_e32 v4, v4, v85
	v_add_f32_e32 v19, v55, v67
	;; [unrolled: 1-line block ×3, first 2 shown]
	v_fma_f32 v14, 0x3f116cb1, v44, -v113
	v_add_f32_e32 v15, v111, v15
	v_fmac_f32_e32 v115, 0x3f116cb1, v40
	v_add_f32_e32 v5, v13, v5
	v_fma_f32 v13, 0x3f62ad3f, v44, -v83
	v_add_f32_e32 v4, v82, v4
	v_fmac_f32_e32 v80, 0x3f62ad3f, v40
	v_mul_f32_e32 v55, 0xbf788fa5, v48
	v_add_f32_e32 v17, v19, v57
	v_add_f32_e32 v19, v53, v63
	v_add_f32_e32 v10, v14, v10
	v_fma_f32 v14, 0xbf788fa5, v42, -v116
	v_add_f32_e32 v15, v115, v15
	v_fmac_f32_e32 v117, 0xbf788fa5, v39
	v_add_f32_e32 v5, v13, v5
	v_fma_f32 v13, 0x3df6dbef, v42, -v81
	v_add_f32_e32 v4, v80, v4
	v_fmac_f32_e32 v78, 0x3df6dbef, v39
	v_mul_f32_e32 v90, 0xbf3f9e67, v47
	v_mul_f32_e32 v77, 0x3f52af12, v77
	;; [unrolled: 1-line block ×3, first 2 shown]
	v_add_f32_e32 v17, v19, v17
	v_add_f32_e32 v18, v52, v55
	;; [unrolled: 1-line block ×3, first 2 shown]
	v_fma_f32 v14, 0x3f62ad3f, v41, -v118
	v_add_f32_e32 v15, v117, v15
	v_fmac_f32_e32 v119, 0x3f62ad3f, v38
	v_add_f32_e32 v5, v13, v5
	v_fma_f32 v13, 0xbf788fa5, v41, -v79
	v_add_f32_e32 v4, v78, v4
	v_fmac_f32_e32 v76, 0xbf788fa5, v38
	v_sub_f32_e32 v72, v90, v74
	v_fmamk_f32 v121, v48, 0x3f116cb1, v77
	v_fma_f32 v96, 0x3f116cb1, v47, -v75
	v_add_f32_e32 v12, v18, v17
	v_add_f32_e32 v10, v14, v10
	v_fma_f32 v14, 0xbeb58ec6, v48, -v112
	v_add_f32_e32 v15, v119, v15
	v_fmac_f32_e32 v114, 0xbeb58ec6, v47
	v_add_f32_e32 v13, v13, v5
	v_fma_f32 v16, 0x3f116cb1, v48, -v77
	v_add_f32_e32 v17, v76, v4
	v_fmac_f32_e32 v75, 0x3f116cb1, v47
	v_add_f32_e32 v9, v9, v35
	v_add_f32_e32 v8, v8, v34
	v_mad_u32_u24 v18, 0x60, v28, v36
	v_add_f32_e32 v65, v89, v91
	v_add_f32_e32 v64, v72, v84
	;; [unrolled: 1-line block ×8, first 2 shown]
	ds_write2_b64 v18, v[8:9], v[11:12] offset1:1
	ds_write2_b64 v18, v[61:62], v[64:65] offset0:2 offset1:3
	ds_write2_b64 v18, v[25:26], v[22:23] offset0:4 offset1:5
	;; [unrolled: 1-line block ×5, first 2 shown]
	ds_write_b64 v18, v[32:33] offset:96
.LBB0_19:
	s_or_b32 exec_lo, exec_lo, s1
	v_and_b32_e32 v4, 0xff, v28
	v_mov_b32_e32 v5, 9
	s_waitcnt lgkmcnt(0)
	s_barrier
	buffer_gl0_inv
	v_mul_lo_u16 v4, 0x4f, v4
	v_add_nc_u32_e32 v38, 0x1400, v36
	v_mov_b32_e32 v47, 0x410
	v_mov_b32_e32 v48, 3
	v_add_nc_u32_e32 v41, 0x1e00, v36
	v_lshrrev_b16 v45, 10, v4
	v_mul_lo_u16 v4, v45, 13
	v_mul_u32_u24_sdwa v49, v45, v47 dst_sel:DWORD dst_unused:UNUSED_PAD src0_sel:WORD_0 src1_sel:DWORD
	v_sub_nc_u16 v46, v28, v4
	v_mul_u32_u24_sdwa v4, v46, v5 dst_sel:DWORD dst_unused:UNUSED_PAD src0_sel:BYTE_0 src1_sel:DWORD
	v_lshlrev_b32_sdwa v50, v48, v46 dst_sel:DWORD dst_unused:UNUSED_PAD src0_sel:DWORD src1_sel:BYTE_0
	v_lshlrev_b32_e32 v20, 3, v4
	s_clause 0x4
	global_load_dwordx4 v[4:7], v20, s[8:9]
	global_load_dwordx4 v[8:11], v20, s[8:9] offset:16
	global_load_dwordx4 v[12:15], v20, s[8:9] offset:32
	;; [unrolled: 1-line block ×3, first 2 shown]
	global_load_dwordx2 v[34:35], v20, s[8:9] offset:64
	ds_read2_b64 v[20:23], v36 offset1:169
	ds_read2_b64 v[24:27], v37 offset0:82 offset1:251
	ds_read2_b64 v[37:40], v38 offset0:36 offset1:205
	;; [unrolled: 1-line block ×4, first 2 shown]
	v_add3_u32 v29, 0, v49, v50
	s_waitcnt vmcnt(0) lgkmcnt(0)
	s_barrier
	buffer_gl0_inv
	v_mul_f32_e32 v49, v5, v23
	v_mul_f32_e32 v50, v5, v22
	;; [unrolled: 1-line block ×18, first 2 shown]
	v_fma_f32 v22, v4, v22, -v49
	v_fmac_f32_e32 v50, v4, v23
	v_fma_f32 v4, v6, v24, -v5
	v_fmac_f32_e32 v7, v6, v25
	;; [unrolled: 2-line block ×7, first 2 shown]
	v_fma_f32 v14, v45, v18, -v56
	v_fma_f32 v16, v47, v34, -v57
	v_fmac_f32_e32 v35, v48, v34
	v_fmac_f32_e32 v19, v46, v18
	v_add_f32_e32 v18, v20, v4
	v_sub_f32_e32 v26, v4, v6
	v_sub_f32_e32 v27, v14, v10
	;; [unrolled: 1-line block ×4, first 2 shown]
	v_add_f32_e32 v39, v21, v7
	v_add_f32_e32 v40, v11, v15
	;; [unrolled: 1-line block ×9, first 2 shown]
	v_sub_f32_e32 v24, v7, v19
	v_sub_f32_e32 v25, v11, v15
	v_add_f32_e32 v34, v4, v14
	v_sub_f32_e32 v41, v6, v10
	v_sub_f32_e32 v42, v7, v11
	v_add_f32_e32 v44, v7, v19
	v_sub_f32_e32 v7, v11, v7
	v_sub_f32_e32 v48, v9, v35
	;; [unrolled: 1-line block ×9, first 2 shown]
	v_add_f32_e32 v6, v18, v6
	v_add_f32_e32 v18, v26, v27
	v_add_f32_e32 v26, v37, v38
	v_add_f32_e32 v11, v39, v11
	v_fma_f32 v27, -0.5, v40, v21
	v_add_f32_e32 v8, v46, v8
	v_fma_f32 v37, -0.5, v47, v22
	v_fmac_f32_e32 v22, -0.5, v53
	v_add_f32_e32 v13, v56, v13
	v_fma_f32 v40, -0.5, v57, v50
	v_fmac_f32_e32 v50, -0.5, v61
	v_sub_f32_e32 v43, v19, v15
	v_sub_f32_e32 v45, v15, v19
	;; [unrolled: 1-line block ×6, first 2 shown]
	v_fma_f32 v23, -0.5, v23, v20
	v_fma_f32 v20, -0.5, v34, v20
	;; [unrolled: 1-line block ×3, first 2 shown]
	v_add_f32_e32 v6, v6, v10
	v_add_f32_e32 v10, v11, v15
	;; [unrolled: 1-line block ×3, first 2 shown]
	v_fmamk_f32 v12, v48, 0x3f737871, v37
	v_fmac_f32_e32 v37, 0xbf737871, v48
	v_fmamk_f32 v46, v49, 0xbf737871, v22
	v_fmac_f32_e32 v22, 0x3f737871, v49
	v_add_f32_e32 v11, v13, v17
	v_fmamk_f32 v13, v5, 0xbf737871, v40
	v_fmac_f32_e32 v40, 0x3f737871, v5
	v_fmamk_f32 v17, v58, 0x3f737871, v50
	v_fmac_f32_e32 v50, 0xbf737871, v58
	v_sub_f32_e32 v4, v4, v14
	v_add_f32_e32 v34, v42, v43
	v_add_f32_e32 v7, v7, v45
	;; [unrolled: 1-line block ×6, first 2 shown]
	v_fmamk_f32 v44, v25, 0xbf737871, v20
	v_fmac_f32_e32 v20, 0x3f737871, v25
	v_fmamk_f32 v45, v41, 0x3f737871, v21
	v_fmac_f32_e32 v21, 0xbf737871, v41
	v_fmac_f32_e32 v12, 0x3f167918, v49
	;; [unrolled: 1-line block ×9, first 2 shown]
	v_fmamk_f32 v43, v24, 0x3f737871, v23
	v_fmac_f32_e32 v23, 0xbf737871, v24
	v_fmamk_f32 v15, v4, 0xbf737871, v27
	v_fmac_f32_e32 v27, 0x3f737871, v4
	v_add_f32_e32 v6, v6, v14
	v_fmac_f32_e32 v44, 0x3f167918, v24
	v_fmac_f32_e32 v20, 0xbf167918, v24
	v_add_f32_e32 v14, v10, v19
	v_fmac_f32_e32 v45, 0xbf167918, v4
	v_fmac_f32_e32 v21, 0x3f167918, v4
	v_add_f32_e32 v8, v8, v16
	v_add_f32_e32 v11, v11, v35
	v_fmac_f32_e32 v12, 0x3e9e377a, v38
	v_fmac_f32_e32 v37, 0x3e9e377a, v38
	;; [unrolled: 1-line block ×16, first 2 shown]
	v_add_f32_e32 v4, v6, v8
	v_add_f32_e32 v5, v14, v11
	v_sub_f32_e32 v10, v6, v8
	v_sub_f32_e32 v11, v14, v11
	v_mul_f32_e32 v14, 0x3f167918, v13
	v_mul_f32_e32 v24, 0x3f737871, v17
	;; [unrolled: 1-line block ×8, first 2 shown]
	v_fmac_f32_e32 v43, 0x3e9e377a, v18
	v_fmac_f32_e32 v23, 0x3e9e377a, v18
	v_fmac_f32_e32 v15, 0x3e9e377a, v34
	v_fmac_f32_e32 v27, 0x3e9e377a, v34
	v_fmac_f32_e32 v14, 0x3f4f1bbd, v12
	v_fmac_f32_e32 v24, 0x3e9e377a, v46
	v_fma_f32 v34, 0x3f737871, v50, -v6
	v_fma_f32 v35, 0x3f167918, v40, -v7
	v_fmac_f32_e32 v25, 0x3f4f1bbd, v13
	v_fmac_f32_e32 v26, 0x3e9e377a, v17
	v_fma_f32 v38, 0xbf737871, v22, -v8
	v_fma_f32 v37, 0xbf167918, v37, -v9
	v_add_f32_e32 v6, v43, v14
	v_add_f32_e32 v16, v44, v24
	;; [unrolled: 1-line block ×8, first 2 shown]
	v_sub_f32_e32 v12, v43, v14
	v_sub_f32_e32 v14, v44, v24
	;; [unrolled: 1-line block ×8, first 2 shown]
	ds_write2_b64 v29, v[4:5], v[6:7] offset1:13
	ds_write2_b64 v29, v[16:17], v[18:19] offset0:26 offset1:39
	ds_write2_b64 v29, v[8:9], v[10:11] offset0:52 offset1:65
	;; [unrolled: 1-line block ×4, first 2 shown]
	s_waitcnt lgkmcnt(0)
	s_barrier
	buffer_gl0_inv
	s_and_saveexec_b32 s1, s0
	s_cbranch_execz .LBB0_21
; %bb.20:
	v_add_nc_u32_e32 v0, 0x800, v36
	v_add_nc_u32_e32 v1, 0x1000, v36
	;; [unrolled: 1-line block ×5, first 2 shown]
	ds_read2_b64 v[4:7], v36 offset1:130
	ds_read2_b64 v[16:19], v0 offset0:4 offset1:134
	ds_read2_b64 v[8:11], v1 offset0:8 offset1:138
	;; [unrolled: 1-line block ×5, first 2 shown]
	ds_read_b64 v[32:33], v36 offset:12480
.LBB0_21:
	s_or_b32 exec_lo, exec_lo, s1
	s_waitcnt lgkmcnt(0)
	s_barrier
	buffer_gl0_inv
	s_and_saveexec_b32 s1, s0
	s_cbranch_execz .LBB0_23
; %bb.22:
	v_add_nc_u32_e32 v24, 0xffffff7e, v28
	v_mov_b32_e32 v25, 0
	v_cndmask_b32_e64 v24, v24, v28, s0
	v_mul_i32_i24_e32 v24, 12, v24
	v_lshlrev_b64 v[24:25], 3, v[24:25]
	v_add_co_u32 v24, s0, s8, v24
	v_add_co_ci_u32_e64 v25, s0, s9, v25, s0
	s_clause 0x5
	global_load_dwordx4 v[38:41], v[24:25], off offset:936
	global_load_dwordx4 v[42:45], v[24:25], off offset:1016
	;; [unrolled: 1-line block ×6, first 2 shown]
	s_waitcnt vmcnt(5)
	v_mul_f32_e32 v29, v7, v39
	s_waitcnt vmcnt(4)
	v_mul_f32_e32 v62, v33, v45
	v_mul_f32_e32 v24, v32, v45
	;; [unrolled: 1-line block ×7, first 2 shown]
	s_waitcnt vmcnt(3)
	v_mul_f32_e32 v43, v19, v47
	s_waitcnt vmcnt(2)
	v_mul_f32_e32 v64, v1, v53
	v_mul_f32_e32 v26, v0, v53
	;; [unrolled: 1-line block ×6, first 2 shown]
	s_waitcnt vmcnt(1)
	v_mul_f32_e32 v51, v11, v55
	s_waitcnt vmcnt(0)
	v_mul_f32_e32 v66, v21, v61
	v_mul_f32_e32 v34, v20, v61
	;; [unrolled: 1-line block ×5, first 2 shown]
	v_fma_f32 v57, v6, v38, -v29
	v_fma_f32 v29, v32, v44, -v62
	v_fmac_f32_e32 v24, v33, v44
	v_fmac_f32_e32 v39, v7, v38
	v_fma_f32 v32, v16, v40, -v45
	v_fma_f32 v16, v2, v42, -v63
	v_mul_f32_e32 v55, v10, v55
	v_mul_f32_e32 v67, v15, v59
	v_fmac_f32_e32 v25, v3, v42
	v_fmac_f32_e32 v41, v17, v40
	v_fma_f32 v33, v18, v46, -v43
	v_fma_f32 v17, v0, v52, -v64
	v_fmac_f32_e32 v26, v1, v52
	v_fmac_f32_e32 v47, v19, v46
	v_fma_f32 v38, v8, v48, -v53
	v_fma_f32 v18, v22, v50, -v65
	;; [unrolled: 1-line block ×4, first 2 shown]
	v_fmac_f32_e32 v34, v21, v60
	v_fmac_f32_e32 v35, v15, v58
	v_sub_f32_e32 v15, v57, v29
	v_sub_f32_e32 v21, v32, v16
	;; [unrolled: 1-line block ×3, first 2 shown]
	v_add_f32_e32 v52, v4, v57
	v_fmac_f32_e32 v55, v11, v54
	v_fma_f32 v20, v12, v56, -v61
	v_fma_f32 v14, v14, v58, -v67
	v_fmac_f32_e32 v37, v13, v56
	v_add_f32_e32 v13, v39, v24
	v_sub_f32_e32 v40, v38, v18
	v_sub_f32_e32 v42, v22, v19
	v_add_f32_e32 v12, v57, v29
	v_sub_f32_e32 v45, v41, v25
	v_add_f32_e32 v39, v5, v39
	v_mul_f32_e32 v53, 0xbe750f2a, v15
	v_mul_f32_e32 v54, 0x3eedf032, v21
	;; [unrolled: 1-line block ×10, first 2 shown]
	v_add_f32_e32 v21, v52, v32
	v_mul_f32_e32 v49, v8, v49
	v_fmac_f32_e32 v27, v23, v50
	v_add_f32_e32 v6, v41, v25
	v_sub_f32_e32 v23, v33, v17
	v_add_f32_e32 v11, v32, v16
	v_mul_f32_e32 v57, 0x3f52af12, v40
	v_mul_f32_e32 v58, 0xbf6f5d39, v42
	;; [unrolled: 1-line block ×20, first 2 shown]
	v_add_f32_e32 v15, v39, v41
	v_fmamk_f32 v32, v13, 0xbf788fa5, v53
	v_fma_f32 v40, 0xbf788fa5, v12, -v60
	v_fmamk_f32 v42, v13, 0xbf3f9e67, v66
	v_fma_f32 v118, 0xbf3f9e67, v12, -v72
	v_add_f32_e32 v21, v21, v33
	v_fmac_f32_e32 v72, 0xbf3f9e67, v12
	v_fmac_f32_e32 v49, v9, v48
	v_add_f32_e32 v3, v47, v26
	v_sub_f32_e32 v46, v47, v26
	v_add_f32_e32 v9, v38, v18
	v_mul_f32_e32 v68, 0xbf52af12, v23
	v_mul_f32_e32 v85, 0x3f29c268, v45
	v_mul_f32_e32 v97, 0xbe750f2a, v45
	v_fmamk_f32 v39, v6, 0x3f62ad3f, v54
	v_fma_f32 v41, 0x3f62ad3f, v11, -v61
	v_fmamk_f32 v52, v6, 0x3df6dbef, v67
	v_fma_f32 v119, 0x3df6dbef, v11, -v73
	v_add_f32_e32 v15, v15, v47
	v_fma_f32 v47, 0xbeb58ec6, v12, -v84
	v_add_f32_e32 v32, v5, v32
	v_add_f32_e32 v21, v21, v38
	v_fma_f32 v38, 0x3df6dbef, v12, -v96
	v_add_f32_e32 v40, v4, v40
	v_add_f32_e32 v42, v5, v42
	v_fmac_f32_e32 v73, 0x3df6dbef, v11
	v_add_f32_e32 v72, v4, v72
	v_add_f32_e32 v10, v33, v17
	v_mul_f32_e32 v86, 0x3eedf032, v46
	v_mul_f32_e32 v108, 0xbf52af12, v44
	;; [unrolled: 1-line block ×3, first 2 shown]
	v_fmamk_f32 v120, v13, 0xbeb58ec6, v78
	v_fma_f32 v122, 0xbf3f9e67, v11, -v85
	v_add_f32_e32 v32, v39, v32
	v_fma_f32 v39, 0xbf788fa5, v11, -v97
	v_add_f32_e32 v40, v41, v40
	v_fmamk_f32 v41, v13, 0x3f116cb1, v102
	v_add_f32_e32 v42, v52, v42
	v_add_f32_e32 v47, v4, v47
	;; [unrolled: 1-line block ×3, first 2 shown]
	v_fma_f32 v78, 0xbeb58ec6, v13, -v78
	v_add_f32_e32 v72, v73, v72
	v_fmamk_f32 v73, v3, 0x3f116cb1, v68
	v_add_f32_e32 v2, v49, v27
	v_mul_f32_e32 v62, 0xbf29c268, v46
	v_mul_f32_e32 v104, 0xbe750f2a, v23
	;; [unrolled: 1-line block ×4, first 2 shown]
	v_fmamk_f32 v121, v6, 0xbf3f9e67, v79
	v_add_f32_e32 v118, v4, v118
	v_fmamk_f32 v52, v6, 0xbeb58ec6, v103
	v_add_f32_e32 v47, v122, v47
	v_add_f32_e32 v41, v5, v41
	;; [unrolled: 1-line block ×3, first 2 shown]
	v_fma_f32 v39, 0x3f62ad3f, v12, -v44
	v_fma_f32 v79, 0xbf3f9e67, v6, -v79
	v_add_f32_e32 v78, v5, v78
	v_fmac_f32_e32 v96, 0x3df6dbef, v12
	v_add_f32_e32 v42, v73, v42
	v_fma_f32 v73, 0x3f62ad3f, v10, -v86
	v_sub_f32_e32 v48, v49, v27
	v_add_f32_e32 v8, v22, v19
	v_mul_f32_e32 v74, 0xbf52af12, v46
	v_mul_f32_e32 v80, 0x3eedf032, v23
	;; [unrolled: 1-line block ×5, first 2 shown]
	v_fmamk_f32 v33, v13, 0x3df6dbef, v90
	v_add_f32_e32 v15, v15, v49
	v_add_f32_e32 v120, v5, v120
	v_add_f32_e32 v118, v119, v118
	v_fma_f32 v119, 0x3f116cb1, v12, -v108
	v_add_f32_e32 v41, v52, v41
	v_fma_f32 v52, 0x3f116cb1, v11, -v45
	v_add_f32_e32 v39, v4, v39
	;; [unrolled: 2-line block ×4, first 2 shown]
	v_fmamk_f32 v79, v2, 0xbf788fa5, v69
	v_fma_f32 v90, 0x3df6dbef, v13, -v90
	v_fmac_f32_e32 v97, 0xbf788fa5, v11
	v_add_f32_e32 v96, v4, v96
	v_add_f32_e32 v47, v73, v47
	v_fmamk_f32 v73, v3, 0xbf788fa5, v104
	v_sub_f32_e32 v50, v55, v34
	v_mul_f32_e32 v56, 0xbf29c268, v23
	v_mul_f32_e32 v63, 0x3f52af12, v48
	;; [unrolled: 1-line block ×8, first 2 shown]
	v_fmamk_f32 v49, v6, 0xbf788fa5, v91
	v_add_f32_e32 v33, v5, v33
	v_add_f32_e32 v120, v121, v120
	v_fma_f32 v121, 0xbeb58ec6, v11, -v109
	v_fmamk_f32 v122, v13, 0x3f62ad3f, v114
	v_add_f32_e32 v119, v4, v119
	v_add_f32_e32 v39, v52, v39
	v_fmac_f32_e32 v60, 0xbf788fa5, v12
	v_add_f32_e32 v15, v15, v55
	v_fma_f32 v54, 0x3f62ad3f, v6, -v54
	v_add_f32_e32 v53, v5, v53
	v_fma_f32 v91, 0xbf788fa5, v6, -v91
	v_add_f32_e32 v90, v5, v90
	v_add_f32_e32 v96, v97, v96
	v_fma_f32 v97, 0x3f116cb1, v10, -v74
	v_add_f32_e32 v22, v22, v40
	v_fmamk_f32 v40, v3, 0x3f62ad3f, v80
	v_add_f32_e32 v41, v73, v41
	v_fma_f32 v73, 0x3df6dbef, v10, -v46
	v_add_f32_e32 v42, v79, v42
	v_fmamk_f32 v79, v2, 0xbf3f9e67, v105
	v_add_f32_e32 v1, v55, v34
	v_sub_f32_e32 v43, v20, v14
	v_add_f32_e32 v7, v20, v14
	v_sub_f32_e32 v51, v37, v35
	v_mul_f32_e32 v64, 0xbf6f5d39, v50
	v_mul_f32_e32 v76, 0x3eedf032, v50
	;; [unrolled: 1-line block ×6, first 2 shown]
	v_add_f32_e32 v33, v49, v33
	v_fmamk_f32 v49, v6, 0x3f116cb1, v115
	v_add_f32_e32 v122, v5, v122
	v_add_f32_e32 v119, v121, v119
	v_fmamk_f32 v121, v3, 0xbf3f9e67, v56
	v_fmac_f32_e32 v61, 0x3f62ad3f, v11
	v_add_f32_e32 v60, v4, v60
	v_add_f32_e32 v53, v54, v53
	v_fma_f32 v54, 0x3f116cb1, v9, -v63
	v_fma_f32 v66, 0xbf3f9e67, v13, -v66
	v_add_f32_e32 v90, v91, v90
	v_add_f32_e32 v97, v97, v118
	v_fmamk_f32 v118, v3, 0xbeb58ec6, v92
	v_add_f32_e32 v40, v40, v120
	v_fma_f32 v120, 0xbeb58ec6, v10, -v98
	v_add_f32_e32 v39, v73, v39
	v_fmamk_f32 v73, v2, 0x3df6dbef, v81
	v_add_f32_e32 v15, v15, v37
	v_add_f32_e32 v20, v21, v20
	v_fma_f32 v92, 0xbeb58ec6, v3, -v92
	v_add_f32_e32 v41, v79, v41
	v_fma_f32 v79, 0xbeb58ec6, v9, -v48
	v_add_f32_e32 v0, v37, v35
	v_mul_f32_e32 v65, 0x3f7e222b, v51
	v_mul_f32_e32 v83, 0x3f52af12, v43
	v_add_f32_e32 v49, v49, v122
	v_fmamk_f32 v122, v2, 0x3f116cb1, v57
	v_add_f32_e32 v60, v61, v60
	v_fma_f32 v61, 0xbeb58ec6, v8, -v64
	v_fma_f32 v67, 0x3df6dbef, v6, -v67
	v_add_f32_e32 v66, v5, v66
	v_add_f32_e32 v32, v121, v32
	;; [unrolled: 1-line block ×3, first 2 shown]
	v_fmamk_f32 v37, v1, 0xbf788fa5, v82
	v_add_f32_e32 v90, v92, v90
	v_fma_f32 v92, 0x3f62ad3f, v9, -v99
	v_add_f32_e32 v22, v54, v22
	v_add_f32_e32 v40, v73, v40
	;; [unrolled: 1-line block ×4, first 2 shown]
	v_fma_f32 v35, 0xbf3f9e67, v8, -v50
	v_add_f32_e32 v14, v20, v14
	v_mul_f32_e32 v59, 0x3f7e222b, v43
	v_mul_f32_e32 v101, 0xbf29c268, v51
	v_fmamk_f32 v52, v1, 0xbeb58ec6, v58
	v_add_f32_e32 v66, v67, v66
	v_fma_f32 v67, 0x3df6dbef, v7, -v65
	v_fmac_f32_e32 v84, 0xbeb58ec6, v12
	v_fma_f32 v56, 0xbf3f9e67, v3, -v56
	v_fmamk_f32 v21, v0, 0x3f116cb1, v83
	v_add_f32_e32 v32, v122, v32
	v_fma_f32 v122, 0x3f116cb1, v8, -v100
	v_add_f32_e32 v38, v92, v38
	v_add_f32_e32 v22, v61, v22
	;; [unrolled: 1-line block ×6, first 2 shown]
	v_mul_f32_e32 v71, 0xbf6f5d39, v43
	v_mul_f32_e32 v77, 0xbf6f5d39, v51
	;; [unrolled: 1-line block ×6, first 2 shown]
	v_fmamk_f32 v55, v0, 0x3df6dbef, v59
	v_fmac_f32_e32 v85, 0xbf3f9e67, v11
	v_add_f32_e32 v84, v4, v84
	v_fmac_f32_e32 v62, 0xbf3f9e67, v10
	v_add_f32_e32 v53, v56, v53
	v_fma_f32 v56, 0x3df6dbef, v9, -v87
	v_fma_f32 v54, 0xbf3f9e67, v7, -v101
	v_add_f32_e32 v32, v52, v32
	v_add_f32_e32 v38, v122, v38
	v_add_f32_e32 v14, v67, v22
	v_add_f32_e32 v22, v21, v37
	v_add_f32_e32 v27, v34, v27
	v_add_f32_e32 v37, v35, v18
	v_fmac_f32_e32 v108, 0x3f116cb1, v12
	v_add_f32_e32 v84, v85, v84
	v_fmamk_f32 v85, v1, 0x3f62ad3f, v70
	v_fmamk_f32 v91, v0, 0xbeb58ec6, v71
	v_add_f32_e32 v33, v118, v33
	v_fma_f32 v118, 0xbf788fa5, v10, -v110
	v_fmamk_f32 v120, v3, 0x3df6dbef, v23
	v_fma_f32 v68, 0x3f116cb1, v3, -v68
	v_add_f32_e32 v60, v62, v60
	v_fma_f32 v62, 0xbf788fa5, v8, -v88
	v_fmac_f32_e32 v74, 0x3f116cb1, v10
	v_add_f32_e32 v47, v56, v47
	v_fma_f32 v123, 0xbf788fa5, v7, -v51
	v_fma_f32 v20, 0x3f116cb1, v2, -v57
	;; [unrolled: 1-line block ×11, first 2 shown]
	v_add_f32_e32 v15, v55, v32
	v_add_f32_e32 v32, v54, v38
	v_add_f32_e32 v38, v27, v26
	v_add_f32_e32 v37, v37, v17
	v_fma_f32 v13, 0x3f62ad3f, v13, -v114
	v_fmac_f32_e32 v44, 0x3f62ad3f, v12
	v_fma_f32 v121, 0xbf788fa5, v9, -v75
	v_add_f32_e32 v12, v4, v108
	v_fmac_f32_e32 v109, 0xbeb58ec6, v11
	v_add_f32_e32 v118, v118, v119
	v_add_f32_e32 v49, v120, v49
	;; [unrolled: 1-line block ×3, first 2 shown]
	v_fma_f32 v68, 0x3f116cb1, v7, -v89
	v_add_f32_e32 v72, v74, v72
	v_fmamk_f32 v74, v2, 0x3f62ad3f, v93
	v_fma_f32 v56, 0xbf3f9e67, v9, -v111
	v_fmamk_f32 v92, v2, 0xbeb58ec6, v116
	v_fma_f32 v102, 0xbeb58ec6, v6, -v103
	v_add_f32_e32 v83, v5, v83
	v_add_f32_e32 v40, v62, v47
	;; [unrolled: 1-line block ×6, first 2 shown]
	v_fma_f32 v6, 0x3f116cb1, v6, -v115
	v_add_f32_e32 v4, v4, v44
	v_fmac_f32_e32 v45, 0x3f116cb1, v11
	v_mul_f32_e32 v107, 0x3eedf032, v43
	v_fma_f32 v80, 0x3f62ad3f, v3, -v80
	v_add_f32_e32 v97, v121, v97
	v_fmamk_f32 v121, v1, 0x3df6dbef, v106
	v_add_f32_e32 v11, v109, v12
	v_fmac_f32_e32 v110, 0xbf788fa5, v10
	v_mul_f32_e32 v95, 0xbf29c268, v43
	v_mul_f32_e32 v43, 0xbe750f2a, v43
	v_add_f32_e32 v33, v74, v33
	v_fma_f32 v74, 0x3df6dbef, v8, -v112
	v_add_f32_e32 v56, v56, v118
	v_add_f32_e32 v49, v92, v49
	v_fmamk_f32 v92, v1, 0xbf3f9e67, v117
	v_add_f32_e32 v20, v20, v53
	v_add_f32_e32 v42, v85, v42
	;; [unrolled: 1-line block ×5, first 2 shown]
	v_fma_f32 v29, 0xbf788fa5, v3, -v104
	v_add_f32_e32 v5, v6, v5
	v_fma_f32 v3, 0x3df6dbef, v3, -v23
	v_add_f32_e32 v4, v45, v4
	v_fmac_f32_e32 v46, 0x3df6dbef, v10
	v_fmac_f32_e32 v86, 0x3f62ad3f, v10
	v_add_f32_e32 v78, v80, v78
	v_fmamk_f32 v73, v0, 0x3f62ad3f, v107
	v_fmac_f32_e32 v63, 0x3f116cb1, v9
	v_fma_f32 v93, 0x3f62ad3f, v2, -v93
	v_add_f32_e32 v41, v121, v41
	v_fmac_f32_e32 v98, 0xbeb58ec6, v10
	v_add_f32_e32 v24, v102, v83
	v_add_f32_e32 v6, v110, v11
	v_fmac_f32_e32 v111, 0xbf3f9e67, v9
	v_fmamk_f32 v79, v0, 0xbf788fa5, v43
	v_add_f32_e32 v47, v74, v56
	v_add_f32_e32 v49, v92, v49
	;; [unrolled: 1-line block ×4, first 2 shown]
	v_fma_f32 v42, 0xbf3f9e67, v2, -v105
	v_add_f32_e32 v3, v3, v5
	v_fma_f32 v2, 0xbeb58ec6, v2, -v116
	v_add_f32_e32 v4, v46, v4
	v_fmac_f32_e32 v48, 0xbeb58ec6, v9
	v_add_f32_e32 v84, v86, v84
	v_fmac_f32_e32 v75, 0xbf788fa5, v9
	v_fmac_f32_e32 v87, 0x3df6dbef, v9
	v_fma_f32 v118, 0x3f62ad3f, v7, -v113
	v_add_f32_e32 v53, v63, v60
	v_add_f32_e32 v63, v71, v78
	;; [unrolled: 1-line block ×4, first 2 shown]
	v_fma_f32 v16, 0x3f116cb1, v1, -v94
	v_add_f32_e32 v41, v98, v96
	v_fmac_f32_e32 v99, 0x3f62ad3f, v9
	v_add_f32_e32 v29, v29, v24
	v_fmamk_f32 v80, v1, 0x3f116cb1, v94
	v_add_f32_e32 v5, v111, v6
	v_fmac_f32_e32 v112, 0x3df6dbef, v8
	v_fma_f32 v119, 0x3f62ad3f, v8, -v76
	v_add_f32_e32 v18, v79, v49
	v_fma_f32 v49, 0x3df6dbef, v1, -v106
	v_add_f32_e32 v2, v2, v3
	v_fma_f32 v1, 0xbf3f9e67, v1, -v117
	v_fmac_f32_e32 v64, 0xbeb58ec6, v8
	v_add_f32_e32 v3, v48, v4
	v_fmac_f32_e32 v50, 0xbf3f9e67, v8
	v_fmac_f32_e32 v76, 0x3f62ad3f, v8
	v_fmac_f32_e32 v88, 0xbf788fa5, v8
	v_add_f32_e32 v59, v59, v66
	v_add_f32_e32 v60, v75, v72
	;; [unrolled: 1-line block ×5, first 2 shown]
	v_fma_f32 v47, 0xbf3f9e67, v0, -v95
	v_add_f32_e32 v41, v99, v41
	v_fmac_f32_e32 v100, 0x3f116cb1, v8
	v_add_f32_e32 v29, v42, v29
	v_fmamk_f32 v86, v0, 0xbf3f9e67, v95
	v_add_f32_e32 v33, v80, v33
	v_add_f32_e32 v4, v112, v5
	v_fmac_f32_e32 v113, 0x3f62ad3f, v7
	v_fma_f32 v120, 0xbeb58ec6, v7, -v77
	v_add_f32_e32 v52, v119, v97
	v_add_f32_e32 v2, v1, v2
	v_fma_f32 v5, 0xbf788fa5, v0, -v43
	v_fmac_f32_e32 v65, 0x3df6dbef, v7
	v_add_f32_e32 v53, v64, v53
	v_add_f32_e32 v6, v50, v3
	v_fmac_f32_e32 v51, 0xbf788fa5, v7
	v_fmac_f32_e32 v77, 0xbeb58ec6, v7
	v_add_f32_e32 v57, v69, v59
	v_add_f32_e32 v59, v76, v60
	;; [unrolled: 1-line block ×4, first 2 shown]
	v_fmac_f32_e32 v89, 0x3f116cb1, v7
	v_add_f32_e32 v42, v47, v16
	v_add_f32_e32 v16, v100, v41
	v_fmac_f32_e32 v101, 0xbf3f9e67, v7
	v_add_f32_e32 v29, v49, v29
	v_fma_f32 v47, 0x3f62ad3f, v0, -v107
	v_add_f32_e32 v33, v86, v33
	v_add_f32_e32 v0, v113, v4
	v_add_nc_u32_e32 v4, 0x800, v36
	v_add_f32_e32 v19, v120, v52
	v_add_f32_e32 v3, v5, v2
	v_add_nc_u32_e32 v5, 0x1000, v36
	v_add_f32_e32 v27, v58, v56
	v_add_f32_e32 v26, v65, v53
	;; [unrolled: 1-line block ×3, first 2 shown]
	v_add_nc_u32_e32 v6, 0x1800, v36
	v_add_f32_e32 v38, v70, v57
	v_add_f32_e32 v37, v77, v59
	v_add_f32_e32 v25, v82, v60
	v_add_f32_e32 v24, v89, v61
	v_add_nc_u32_e32 v7, 0x2000, v36
	v_add_f32_e32 v41, v101, v16
	v_add_f32_e32 v1, v47, v29
	v_add_nc_u32_e32 v8, 0x2800, v36
	ds_write2_b64 v36, v[39:40], v[17:18] offset1:130
	ds_write2_b64 v4, v[34:35], v[32:33] offset0:4 offset1:134
	ds_write2_b64 v5, v[21:22], v[19:20] offset0:8 offset1:138
	;; [unrolled: 1-line block ×5, first 2 shown]
	ds_write_b64 v36, v[2:3] offset:12480
.LBB0_23:
	s_or_b32 exec_lo, exec_lo, s1
	s_waitcnt lgkmcnt(0)
	s_barrier
	buffer_gl0_inv
	s_and_saveexec_b32 s0, vcc_lo
	s_cbranch_execz .LBB0_25
; %bb.24:
	v_lshl_add_u32 v20, v28, 3, 0
	v_mov_b32_e32 v29, 0
	v_add_nc_u32_e32 v4, 0xa9, v28
	v_add_co_u32 v21, vcc_lo, s2, v30
	ds_read2_b64 v[0:3], v20 offset1:169
	v_lshlrev_b64 v[6:7], 3, v[28:29]
	v_mov_b32_e32 v5, v29
	v_add_co_ci_u32_e32 v22, vcc_lo, s3, v31, vcc_lo
	v_add_nc_u32_e32 v14, 0x800, v20
	v_add_nc_u32_e32 v8, 0x152, v28
	v_lshlrev_b64 v[4:5], 3, v[4:5]
	v_add_co_u32 v6, vcc_lo, v21, v6
	v_add_co_ci_u32_e32 v7, vcc_lo, v22, v7, vcc_lo
	v_add_nc_u32_e32 v10, 0x1fb, v28
	v_mov_b32_e32 v9, v29
	v_mov_b32_e32 v11, v29
	v_add_nc_u32_e32 v17, 0x1400, v20
	v_add_co_u32 v12, vcc_lo, v21, v4
	v_add_co_ci_u32_e32 v13, vcc_lo, v22, v5, vcc_lo
	s_waitcnt lgkmcnt(0)
	global_store_dwordx2 v[6:7], v[0:1], off
	ds_read2_b64 v[4:7], v14 offset0:82 offset1:251
	v_lshlrev_b64 v[0:1], 3, v[8:9]
	v_lshlrev_b64 v[14:15], 3, v[10:11]
	ds_read2_b64 v[8:11], v17 offset0:36 offset1:205
	v_add_nc_u32_e32 v16, 0x2a4, v28
	v_mov_b32_e32 v17, v29
	v_add_nc_u32_e32 v18, 0x34d, v28
	v_add_co_u32 v0, vcc_lo, v21, v0
	v_add_co_ci_u32_e32 v1, vcc_lo, v22, v1, vcc_lo
	v_lshlrev_b64 v[16:17], 3, v[16:17]
	v_add_co_u32 v14, vcc_lo, v21, v14
	v_add_co_ci_u32_e32 v15, vcc_lo, v22, v15, vcc_lo
	v_mov_b32_e32 v19, v29
	v_add_co_u32 v16, vcc_lo, v21, v16
	v_add_co_ci_u32_e32 v17, vcc_lo, v22, v17, vcc_lo
	global_store_dwordx2 v[12:13], v[2:3], off
	s_waitcnt lgkmcnt(1)
	global_store_dwordx2 v[0:1], v[4:5], off
	global_store_dwordx2 v[14:15], v[6:7], off
	s_waitcnt lgkmcnt(0)
	global_store_dwordx2 v[16:17], v[8:9], off
	v_lshlrev_b64 v[0:1], 3, v[18:19]
	v_add_nc_u32_e32 v2, 0x1e00, v20
	v_add_nc_u32_e32 v4, 0x3f6, v28
	v_mov_b32_e32 v5, v29
	v_add_nc_u32_e32 v6, 0x49f, v28
	v_mov_b32_e32 v7, v29
	v_add_nc_u32_e32 v18, 0x2800, v20
	v_add_co_u32 v8, vcc_lo, v21, v0
	v_add_co_ci_u32_e32 v9, vcc_lo, v22, v1, vcc_lo
	ds_read2_b64 v[0:3], v2 offset0:54 offset1:223
	v_lshlrev_b64 v[12:13], 3, v[4:5]
	v_lshlrev_b64 v[14:15], 3, v[6:7]
	v_add_nc_u32_e32 v16, 0x548, v28
	v_mov_b32_e32 v17, v29
	ds_read2_b64 v[4:7], v18 offset0:72 offset1:241
	v_add_nc_u32_e32 v28, 0x5f1, v28
	v_add_co_u32 v12, vcc_lo, v21, v12
	v_lshlrev_b64 v[16:17], 3, v[16:17]
	v_add_co_ci_u32_e32 v13, vcc_lo, v22, v13, vcc_lo
	v_add_co_u32 v14, vcc_lo, v21, v14
	v_lshlrev_b64 v[18:19], 3, v[28:29]
	v_add_co_ci_u32_e32 v15, vcc_lo, v22, v15, vcc_lo
	v_add_co_u32 v16, vcc_lo, v21, v16
	v_add_co_ci_u32_e32 v17, vcc_lo, v22, v17, vcc_lo
	v_add_co_u32 v18, vcc_lo, v21, v18
	v_add_co_ci_u32_e32 v19, vcc_lo, v22, v19, vcc_lo
	global_store_dwordx2 v[8:9], v[10:11], off
	s_waitcnt lgkmcnt(1)
	global_store_dwordx2 v[12:13], v[0:1], off
	global_store_dwordx2 v[14:15], v[2:3], off
	s_waitcnt lgkmcnt(0)
	global_store_dwordx2 v[16:17], v[4:5], off
	global_store_dwordx2 v[18:19], v[6:7], off
.LBB0_25:
	s_endpgm
	.section	.rodata,"a",@progbits
	.p2align	6, 0x0
	.amdhsa_kernel fft_rtc_fwd_len1690_factors_13_10_13_wgs_169_tpt_169_sp_ip_CI_unitstride_sbrr_C2R_dirReg
		.amdhsa_group_segment_fixed_size 0
		.amdhsa_private_segment_fixed_size 0
		.amdhsa_kernarg_size 88
		.amdhsa_user_sgpr_count 6
		.amdhsa_user_sgpr_private_segment_buffer 1
		.amdhsa_user_sgpr_dispatch_ptr 0
		.amdhsa_user_sgpr_queue_ptr 0
		.amdhsa_user_sgpr_kernarg_segment_ptr 1
		.amdhsa_user_sgpr_dispatch_id 0
		.amdhsa_user_sgpr_flat_scratch_init 0
		.amdhsa_user_sgpr_private_segment_size 0
		.amdhsa_wavefront_size32 1
		.amdhsa_uses_dynamic_stack 0
		.amdhsa_system_sgpr_private_segment_wavefront_offset 0
		.amdhsa_system_sgpr_workgroup_id_x 1
		.amdhsa_system_sgpr_workgroup_id_y 0
		.amdhsa_system_sgpr_workgroup_id_z 0
		.amdhsa_system_sgpr_workgroup_info 0
		.amdhsa_system_vgpr_workitem_id 0
		.amdhsa_next_free_vgpr 125
		.amdhsa_next_free_sgpr 21
		.amdhsa_reserve_vcc 1
		.amdhsa_reserve_flat_scratch 0
		.amdhsa_float_round_mode_32 0
		.amdhsa_float_round_mode_16_64 0
		.amdhsa_float_denorm_mode_32 3
		.amdhsa_float_denorm_mode_16_64 3
		.amdhsa_dx10_clamp 1
		.amdhsa_ieee_mode 1
		.amdhsa_fp16_overflow 0
		.amdhsa_workgroup_processor_mode 1
		.amdhsa_memory_ordered 1
		.amdhsa_forward_progress 0
		.amdhsa_shared_vgpr_count 0
		.amdhsa_exception_fp_ieee_invalid_op 0
		.amdhsa_exception_fp_denorm_src 0
		.amdhsa_exception_fp_ieee_div_zero 0
		.amdhsa_exception_fp_ieee_overflow 0
		.amdhsa_exception_fp_ieee_underflow 0
		.amdhsa_exception_fp_ieee_inexact 0
		.amdhsa_exception_int_div_zero 0
	.end_amdhsa_kernel
	.text
.Lfunc_end0:
	.size	fft_rtc_fwd_len1690_factors_13_10_13_wgs_169_tpt_169_sp_ip_CI_unitstride_sbrr_C2R_dirReg, .Lfunc_end0-fft_rtc_fwd_len1690_factors_13_10_13_wgs_169_tpt_169_sp_ip_CI_unitstride_sbrr_C2R_dirReg
                                        ; -- End function
	.section	.AMDGPU.csdata,"",@progbits
; Kernel info:
; codeLenInByte = 10720
; NumSgprs: 23
; NumVgprs: 125
; ScratchSize: 0
; MemoryBound: 0
; FloatMode: 240
; IeeeMode: 1
; LDSByteSize: 0 bytes/workgroup (compile time only)
; SGPRBlocks: 2
; VGPRBlocks: 15
; NumSGPRsForWavesPerEU: 23
; NumVGPRsForWavesPerEU: 125
; Occupancy: 8
; WaveLimiterHint : 1
; COMPUTE_PGM_RSRC2:SCRATCH_EN: 0
; COMPUTE_PGM_RSRC2:USER_SGPR: 6
; COMPUTE_PGM_RSRC2:TRAP_HANDLER: 0
; COMPUTE_PGM_RSRC2:TGID_X_EN: 1
; COMPUTE_PGM_RSRC2:TGID_Y_EN: 0
; COMPUTE_PGM_RSRC2:TGID_Z_EN: 0
; COMPUTE_PGM_RSRC2:TIDIG_COMP_CNT: 0
	.text
	.p2alignl 6, 3214868480
	.fill 48, 4, 3214868480
	.type	__hip_cuid_ef556eba8e83b450,@object ; @__hip_cuid_ef556eba8e83b450
	.section	.bss,"aw",@nobits
	.globl	__hip_cuid_ef556eba8e83b450
__hip_cuid_ef556eba8e83b450:
	.byte	0                               ; 0x0
	.size	__hip_cuid_ef556eba8e83b450, 1

	.ident	"AMD clang version 19.0.0git (https://github.com/RadeonOpenCompute/llvm-project roc-6.4.0 25133 c7fe45cf4b819c5991fe208aaa96edf142730f1d)"
	.section	".note.GNU-stack","",@progbits
	.addrsig
	.addrsig_sym __hip_cuid_ef556eba8e83b450
	.amdgpu_metadata
---
amdhsa.kernels:
  - .args:
      - .actual_access:  read_only
        .address_space:  global
        .offset:         0
        .size:           8
        .value_kind:     global_buffer
      - .offset:         8
        .size:           8
        .value_kind:     by_value
      - .actual_access:  read_only
        .address_space:  global
        .offset:         16
        .size:           8
        .value_kind:     global_buffer
      - .actual_access:  read_only
        .address_space:  global
        .offset:         24
        .size:           8
        .value_kind:     global_buffer
      - .offset:         32
        .size:           8
        .value_kind:     by_value
      - .actual_access:  read_only
        .address_space:  global
        .offset:         40
        .size:           8
        .value_kind:     global_buffer
      - .actual_access:  read_only
        .address_space:  global
        .offset:         48
        .size:           8
        .value_kind:     global_buffer
      - .offset:         56
        .size:           4
        .value_kind:     by_value
      - .actual_access:  read_only
        .address_space:  global
        .offset:         64
        .size:           8
        .value_kind:     global_buffer
      - .actual_access:  read_only
        .address_space:  global
        .offset:         72
        .size:           8
        .value_kind:     global_buffer
      - .address_space:  global
        .offset:         80
        .size:           8
        .value_kind:     global_buffer
    .group_segment_fixed_size: 0
    .kernarg_segment_align: 8
    .kernarg_segment_size: 88
    .language:       OpenCL C
    .language_version:
      - 2
      - 0
    .max_flat_workgroup_size: 169
    .name:           fft_rtc_fwd_len1690_factors_13_10_13_wgs_169_tpt_169_sp_ip_CI_unitstride_sbrr_C2R_dirReg
    .private_segment_fixed_size: 0
    .sgpr_count:     23
    .sgpr_spill_count: 0
    .symbol:         fft_rtc_fwd_len1690_factors_13_10_13_wgs_169_tpt_169_sp_ip_CI_unitstride_sbrr_C2R_dirReg.kd
    .uniform_work_group_size: 1
    .uses_dynamic_stack: false
    .vgpr_count:     125
    .vgpr_spill_count: 0
    .wavefront_size: 32
    .workgroup_processor_mode: 1
amdhsa.target:   amdgcn-amd-amdhsa--gfx1030
amdhsa.version:
  - 1
  - 2
...

	.end_amdgpu_metadata
